;; amdgpu-corpus repo=ROCm/rocFFT kind=compiled arch=gfx906 opt=O3
	.text
	.amdgcn_target "amdgcn-amd-amdhsa--gfx906"
	.amdhsa_code_object_version 6
	.protected	fft_rtc_fwd_len702_factors_13_3_6_3_wgs_117_tpt_117_halfLds_dp_ip_CI_unitstride_sbrr_C2R_dirReg ; -- Begin function fft_rtc_fwd_len702_factors_13_3_6_3_wgs_117_tpt_117_halfLds_dp_ip_CI_unitstride_sbrr_C2R_dirReg
	.globl	fft_rtc_fwd_len702_factors_13_3_6_3_wgs_117_tpt_117_halfLds_dp_ip_CI_unitstride_sbrr_C2R_dirReg
	.p2align	8
	.type	fft_rtc_fwd_len702_factors_13_3_6_3_wgs_117_tpt_117_halfLds_dp_ip_CI_unitstride_sbrr_C2R_dirReg,@function
fft_rtc_fwd_len702_factors_13_3_6_3_wgs_117_tpt_117_halfLds_dp_ip_CI_unitstride_sbrr_C2R_dirReg: ; @fft_rtc_fwd_len702_factors_13_3_6_3_wgs_117_tpt_117_halfLds_dp_ip_CI_unitstride_sbrr_C2R_dirReg
; %bb.0:
	s_load_dwordx2 s[2:3], s[4:5], 0x50
	s_load_dwordx4 s[8:11], s[4:5], 0x0
	s_load_dwordx2 s[12:13], s[4:5], 0x18
	v_mul_u32_u24_e32 v1, 0x231, v0
	v_add_u32_sdwa v5, s6, v1 dst_sel:DWORD dst_unused:UNUSED_PAD src0_sel:DWORD src1_sel:WORD_1
	v_mov_b32_e32 v3, 0
	s_waitcnt lgkmcnt(0)
	v_cmp_lt_u64_e64 s[0:1], s[10:11], 2
	v_mov_b32_e32 v1, 0
	v_mov_b32_e32 v6, v3
	s_and_b64 vcc, exec, s[0:1]
	v_mov_b32_e32 v2, 0
	s_cbranch_vccnz .LBB0_8
; %bb.1:
	s_load_dwordx2 s[0:1], s[4:5], 0x10
	s_add_u32 s6, s12, 8
	s_addc_u32 s7, s13, 0
	v_mov_b32_e32 v1, 0
	v_mov_b32_e32 v2, 0
	s_waitcnt lgkmcnt(0)
	s_add_u32 s14, s0, 8
	s_addc_u32 s15, s1, 0
	s_mov_b64 s[16:17], 1
.LBB0_2:                                ; =>This Inner Loop Header: Depth=1
	s_load_dwordx2 s[18:19], s[14:15], 0x0
                                        ; implicit-def: $vgpr7_vgpr8
	s_waitcnt lgkmcnt(0)
	v_or_b32_e32 v4, s19, v6
	v_cmp_ne_u64_e32 vcc, 0, v[3:4]
	s_and_saveexec_b64 s[0:1], vcc
	s_xor_b64 s[20:21], exec, s[0:1]
	s_cbranch_execz .LBB0_4
; %bb.3:                                ;   in Loop: Header=BB0_2 Depth=1
	v_cvt_f32_u32_e32 v4, s18
	v_cvt_f32_u32_e32 v7, s19
	s_sub_u32 s0, 0, s18
	s_subb_u32 s1, 0, s19
	v_mac_f32_e32 v4, 0x4f800000, v7
	v_rcp_f32_e32 v4, v4
	v_mul_f32_e32 v4, 0x5f7ffffc, v4
	v_mul_f32_e32 v7, 0x2f800000, v4
	v_trunc_f32_e32 v7, v7
	v_mac_f32_e32 v4, 0xcf800000, v7
	v_cvt_u32_f32_e32 v7, v7
	v_cvt_u32_f32_e32 v4, v4
	v_mul_lo_u32 v8, s0, v7
	v_mul_hi_u32 v9, s0, v4
	v_mul_lo_u32 v11, s1, v4
	v_mul_lo_u32 v10, s0, v4
	v_add_u32_e32 v8, v9, v8
	v_add_u32_e32 v8, v8, v11
	v_mul_hi_u32 v9, v4, v10
	v_mul_lo_u32 v11, v4, v8
	v_mul_hi_u32 v13, v4, v8
	v_mul_hi_u32 v12, v7, v10
	v_mul_lo_u32 v10, v7, v10
	v_mul_hi_u32 v14, v7, v8
	v_add_co_u32_e32 v9, vcc, v9, v11
	v_addc_co_u32_e32 v11, vcc, 0, v13, vcc
	v_mul_lo_u32 v8, v7, v8
	v_add_co_u32_e32 v9, vcc, v9, v10
	v_addc_co_u32_e32 v9, vcc, v11, v12, vcc
	v_addc_co_u32_e32 v10, vcc, 0, v14, vcc
	v_add_co_u32_e32 v8, vcc, v9, v8
	v_addc_co_u32_e32 v9, vcc, 0, v10, vcc
	v_add_co_u32_e32 v4, vcc, v4, v8
	v_addc_co_u32_e32 v7, vcc, v7, v9, vcc
	v_mul_lo_u32 v8, s0, v7
	v_mul_hi_u32 v9, s0, v4
	v_mul_lo_u32 v10, s1, v4
	v_mul_lo_u32 v11, s0, v4
	v_add_u32_e32 v8, v9, v8
	v_add_u32_e32 v8, v8, v10
	v_mul_lo_u32 v12, v4, v8
	v_mul_hi_u32 v13, v4, v11
	v_mul_hi_u32 v14, v4, v8
	;; [unrolled: 1-line block ×3, first 2 shown]
	v_mul_lo_u32 v11, v7, v11
	v_mul_hi_u32 v9, v7, v8
	v_add_co_u32_e32 v12, vcc, v13, v12
	v_addc_co_u32_e32 v13, vcc, 0, v14, vcc
	v_mul_lo_u32 v8, v7, v8
	v_add_co_u32_e32 v11, vcc, v12, v11
	v_addc_co_u32_e32 v10, vcc, v13, v10, vcc
	v_addc_co_u32_e32 v9, vcc, 0, v9, vcc
	v_add_co_u32_e32 v8, vcc, v10, v8
	v_addc_co_u32_e32 v9, vcc, 0, v9, vcc
	v_add_co_u32_e32 v4, vcc, v4, v8
	v_addc_co_u32_e32 v9, vcc, v7, v9, vcc
	v_mad_u64_u32 v[7:8], s[0:1], v5, v9, 0
	v_mul_hi_u32 v10, v5, v4
	v_add_co_u32_e32 v11, vcc, v10, v7
	v_addc_co_u32_e32 v12, vcc, 0, v8, vcc
	v_mad_u64_u32 v[7:8], s[0:1], v6, v4, 0
	v_mad_u64_u32 v[9:10], s[0:1], v6, v9, 0
	v_add_co_u32_e32 v4, vcc, v11, v7
	v_addc_co_u32_e32 v4, vcc, v12, v8, vcc
	v_addc_co_u32_e32 v7, vcc, 0, v10, vcc
	v_add_co_u32_e32 v4, vcc, v4, v9
	v_addc_co_u32_e32 v9, vcc, 0, v7, vcc
	v_mul_lo_u32 v10, s19, v4
	v_mul_lo_u32 v11, s18, v9
	v_mad_u64_u32 v[7:8], s[0:1], s18, v4, 0
	v_add3_u32 v8, v8, v11, v10
	v_sub_u32_e32 v10, v6, v8
	v_mov_b32_e32 v11, s19
	v_sub_co_u32_e32 v7, vcc, v5, v7
	v_subb_co_u32_e64 v10, s[0:1], v10, v11, vcc
	v_subrev_co_u32_e64 v11, s[0:1], s18, v7
	v_subbrev_co_u32_e64 v10, s[0:1], 0, v10, s[0:1]
	v_cmp_le_u32_e64 s[0:1], s19, v10
	v_cndmask_b32_e64 v12, 0, -1, s[0:1]
	v_cmp_le_u32_e64 s[0:1], s18, v11
	v_cndmask_b32_e64 v11, 0, -1, s[0:1]
	v_cmp_eq_u32_e64 s[0:1], s19, v10
	v_cndmask_b32_e64 v10, v12, v11, s[0:1]
	v_add_co_u32_e64 v11, s[0:1], 2, v4
	v_addc_co_u32_e64 v12, s[0:1], 0, v9, s[0:1]
	v_add_co_u32_e64 v13, s[0:1], 1, v4
	v_addc_co_u32_e64 v14, s[0:1], 0, v9, s[0:1]
	v_subb_co_u32_e32 v8, vcc, v6, v8, vcc
	v_cmp_ne_u32_e64 s[0:1], 0, v10
	v_cmp_le_u32_e32 vcc, s19, v8
	v_cndmask_b32_e64 v10, v14, v12, s[0:1]
	v_cndmask_b32_e64 v12, 0, -1, vcc
	v_cmp_le_u32_e32 vcc, s18, v7
	v_cndmask_b32_e64 v7, 0, -1, vcc
	v_cmp_eq_u32_e32 vcc, s19, v8
	v_cndmask_b32_e32 v7, v12, v7, vcc
	v_cmp_ne_u32_e32 vcc, 0, v7
	v_cndmask_b32_e64 v7, v13, v11, s[0:1]
	v_cndmask_b32_e32 v8, v9, v10, vcc
	v_cndmask_b32_e32 v7, v4, v7, vcc
.LBB0_4:                                ;   in Loop: Header=BB0_2 Depth=1
	s_andn2_saveexec_b64 s[0:1], s[20:21]
	s_cbranch_execz .LBB0_6
; %bb.5:                                ;   in Loop: Header=BB0_2 Depth=1
	v_cvt_f32_u32_e32 v4, s18
	s_sub_i32 s20, 0, s18
	v_rcp_iflag_f32_e32 v4, v4
	v_mul_f32_e32 v4, 0x4f7ffffe, v4
	v_cvt_u32_f32_e32 v4, v4
	v_mul_lo_u32 v7, s20, v4
	v_mul_hi_u32 v7, v4, v7
	v_add_u32_e32 v4, v4, v7
	v_mul_hi_u32 v4, v5, v4
	v_mul_lo_u32 v7, v4, s18
	v_add_u32_e32 v8, 1, v4
	v_sub_u32_e32 v7, v5, v7
	v_subrev_u32_e32 v9, s18, v7
	v_cmp_le_u32_e32 vcc, s18, v7
	v_cndmask_b32_e32 v7, v7, v9, vcc
	v_cndmask_b32_e32 v4, v4, v8, vcc
	v_add_u32_e32 v8, 1, v4
	v_cmp_le_u32_e32 vcc, s18, v7
	v_cndmask_b32_e32 v7, v4, v8, vcc
	v_mov_b32_e32 v8, v3
.LBB0_6:                                ;   in Loop: Header=BB0_2 Depth=1
	s_or_b64 exec, exec, s[0:1]
	v_mul_lo_u32 v4, v8, s18
	v_mul_lo_u32 v11, v7, s19
	v_mad_u64_u32 v[9:10], s[0:1], v7, s18, 0
	s_load_dwordx2 s[0:1], s[6:7], 0x0
	s_add_u32 s16, s16, 1
	v_add3_u32 v4, v10, v11, v4
	v_sub_co_u32_e32 v5, vcc, v5, v9
	v_subb_co_u32_e32 v4, vcc, v6, v4, vcc
	s_waitcnt lgkmcnt(0)
	v_mul_lo_u32 v4, s0, v4
	v_mul_lo_u32 v6, s1, v5
	v_mad_u64_u32 v[1:2], s[0:1], s0, v5, v[1:2]
	s_addc_u32 s17, s17, 0
	s_add_u32 s6, s6, 8
	v_add3_u32 v2, v6, v2, v4
	v_mov_b32_e32 v4, s10
	v_mov_b32_e32 v5, s11
	s_addc_u32 s7, s7, 0
	v_cmp_ge_u64_e32 vcc, s[16:17], v[4:5]
	s_add_u32 s14, s14, 8
	s_addc_u32 s15, s15, 0
	s_cbranch_vccnz .LBB0_9
; %bb.7:                                ;   in Loop: Header=BB0_2 Depth=1
	v_mov_b32_e32 v5, v7
	v_mov_b32_e32 v6, v8
	s_branch .LBB0_2
.LBB0_8:
	v_mov_b32_e32 v8, v6
	v_mov_b32_e32 v7, v5
.LBB0_9:
	s_lshl_b64 s[0:1], s[10:11], 3
	s_add_u32 s0, s12, s0
	s_addc_u32 s1, s13, s1
	s_load_dwordx2 s[6:7], s[0:1], 0x0
	s_load_dwordx2 s[10:11], s[4:5], 0x20
	s_waitcnt lgkmcnt(0)
	v_mad_u64_u32 v[1:2], s[0:1], s6, v7, v[1:2]
	v_mul_lo_u32 v3, s6, v8
	v_mul_lo_u32 v4, s7, v7
	s_mov_b32 s0, 0x2302303
	v_mul_hi_u32 v5, v0, s0
	v_cmp_gt_u64_e64 s[0:1], s[10:11], v[7:8]
	v_add3_u32 v2, v4, v2, v3
	v_lshlrev_b64 v[54:55], 4, v[1:2]
	v_mul_u32_u24_e32 v3, 0x75, v5
	v_sub_u32_e32 v52, v0, v3
	s_and_saveexec_b64 s[4:5], s[0:1]
	s_cbranch_execz .LBB0_13
; %bb.10:
	v_mov_b32_e32 v53, 0
	v_mov_b32_e32 v0, s3
	v_add_co_u32_e32 v1, vcc, s2, v54
	v_lshlrev_b64 v[2:3], 4, v[52:53]
	v_addc_co_u32_e32 v0, vcc, v0, v55, vcc
	v_add_co_u32_e32 v26, vcc, v1, v2
	v_addc_co_u32_e32 v27, vcc, v0, v3, vcc
	s_movk_i32 s6, 0x1000
	v_add_co_u32_e32 v28, vcc, s6, v26
	v_addc_co_u32_e32 v29, vcc, 0, v27, vcc
	v_add_co_u32_e32 v30, vcc, 0x2000, v26
	global_load_dwordx4 v[2:5], v[26:27], off
	global_load_dwordx4 v[6:9], v[26:27], off offset:1872
	v_addc_co_u32_e32 v31, vcc, 0, v27, vcc
	global_load_dwordx4 v[10:13], v[26:27], off offset:3744
	global_load_dwordx4 v[14:17], v[28:29], off offset:1520
	;; [unrolled: 1-line block ×4, first 2 shown]
	s_movk_i32 s6, 0x74
	v_lshl_add_u32 v26, v52, 4, 0
	v_cmp_eq_u32_e32 vcc, s6, v52
	s_waitcnt vmcnt(5)
	ds_write_b128 v26, v[2:5]
	s_waitcnt vmcnt(4)
	ds_write_b128 v26, v[6:9] offset:1872
	s_waitcnt vmcnt(3)
	ds_write_b128 v26, v[10:13] offset:3744
	;; [unrolled: 2-line block ×5, first 2 shown]
	s_and_saveexec_b64 s[6:7], vcc
	s_cbranch_execz .LBB0_12
; %bb.11:
	v_add_co_u32_e32 v1, vcc, 0x2000, v1
	v_addc_co_u32_e32 v2, vcc, 0, v0, vcc
	global_load_dwordx4 v[0:3], v[1:2], off offset:3040
	v_mov_b32_e32 v52, 0x74
	s_waitcnt vmcnt(0)
	ds_write_b128 v53, v[0:3] offset:11232
.LBB0_12:
	s_or_b64 exec, exec, s[6:7]
.LBB0_13:
	s_or_b64 exec, exec, s[4:5]
	v_lshlrev_b32_e32 v0, 4, v52
	v_add_u32_e32 v86, 0, v0
	s_waitcnt lgkmcnt(0)
	s_barrier
	v_sub_u32_e32 v10, 0, v0
	ds_read_b64 v[6:7], v86
	ds_read_b64 v[8:9], v10 offset:11232
	s_add_u32 s6, s8, 0x2b10
	s_addc_u32 s7, s9, 0
	v_cmp_ne_u32_e32 vcc, 0, v52
                                        ; implicit-def: $vgpr4_vgpr5
	s_waitcnt lgkmcnt(0)
	v_add_f64 v[0:1], v[6:7], v[8:9]
	v_add_f64 v[2:3], v[6:7], -v[8:9]
	s_and_saveexec_b64 s[4:5], vcc
	s_xor_b64 s[4:5], exec, s[4:5]
	s_cbranch_execz .LBB0_15
; %bb.14:
	v_mov_b32_e32 v53, 0
	v_lshlrev_b64 v[0:1], 4, v[52:53]
	v_mov_b32_e32 v2, s7
	v_add_co_u32_e32 v0, vcc, s6, v0
	v_addc_co_u32_e32 v1, vcc, v2, v1, vcc
	global_load_dwordx4 v[2:5], v[0:1], off
	ds_read_b64 v[0:1], v10 offset:11240
	ds_read_b64 v[11:12], v86 offset:8
	v_add_f64 v[13:14], v[6:7], v[8:9]
	v_add_f64 v[8:9], v[6:7], -v[8:9]
	s_waitcnt lgkmcnt(0)
	v_add_f64 v[15:16], v[0:1], v[11:12]
	v_add_f64 v[0:1], v[11:12], -v[0:1]
	s_waitcnt vmcnt(0)
	v_fma_f64 v[6:7], -v[8:9], v[4:5], v[13:14]
	v_fma_f64 v[11:12], v[15:16], v[4:5], -v[0:1]
	v_fma_f64 v[13:14], v[8:9], v[4:5], v[13:14]
	v_fma_f64 v[17:18], v[15:16], v[4:5], v[0:1]
	;; [unrolled: 1-line block ×4, first 2 shown]
	v_fma_f64 v[0:1], -v[15:16], v[2:3], v[13:14]
	v_fma_f64 v[2:3], v[8:9], v[2:3], v[17:18]
	ds_write_b128 v10, v[4:7] offset:11232
	v_mov_b32_e32 v4, v52
	v_mov_b32_e32 v5, v53
.LBB0_15:
	s_andn2_saveexec_b64 s[4:5], s[4:5]
	s_cbranch_execz .LBB0_17
; %bb.16:
	v_mov_b32_e32 v8, 0
	ds_read_b128 v[4:7], v8 offset:5616
	s_waitcnt lgkmcnt(0)
	v_add_f64 v[11:12], v[4:5], v[4:5]
	v_mul_f64 v[13:14], v[6:7], -2.0
	v_mov_b32_e32 v4, 0
	v_mov_b32_e32 v5, 0
	ds_write_b128 v8, v[11:14] offset:5616
.LBB0_17:
	s_or_b64 exec, exec, s[4:5]
	v_lshlrev_b64 v[4:5], 4, v[4:5]
	v_mov_b32_e32 v6, s7
	v_add_co_u32_e32 v8, vcc, s6, v4
	v_addc_co_u32_e32 v9, vcc, v6, v5, vcc
	global_load_dwordx4 v[4:7], v[8:9], off offset:1872
	global_load_dwordx4 v[11:14], v[8:9], off offset:3744
	ds_write_b128 v86, v[0:3]
	ds_read_b128 v[0:3], v86 offset:1872
	ds_read_b128 v[15:18], v10 offset:9360
	v_cmp_gt_u32_e32 vcc, 54, v52
	s_waitcnt lgkmcnt(0)
	v_add_f64 v[8:9], v[0:1], v[15:16]
	v_add_f64 v[19:20], v[17:18], v[2:3]
	v_add_f64 v[15:16], v[0:1], -v[15:16]
	v_add_f64 v[0:1], v[2:3], -v[17:18]
	s_waitcnt vmcnt(1)
	v_fma_f64 v[2:3], v[15:16], v[6:7], v[8:9]
	v_fma_f64 v[17:18], v[19:20], v[6:7], v[0:1]
	v_fma_f64 v[8:9], -v[15:16], v[6:7], v[8:9]
	v_fma_f64 v[21:22], v[19:20], v[6:7], -v[0:1]
	v_fma_f64 v[0:1], -v[19:20], v[4:5], v[2:3]
	v_fma_f64 v[2:3], v[15:16], v[4:5], v[17:18]
	v_fma_f64 v[6:7], v[19:20], v[4:5], v[8:9]
	v_fma_f64 v[8:9], v[15:16], v[4:5], v[21:22]
	ds_write_b128 v86, v[0:3] offset:1872
	ds_write_b128 v10, v[6:9] offset:9360
	ds_read_b128 v[0:3], v86 offset:3744
	ds_read_b128 v[4:7], v10 offset:7488
	s_waitcnt lgkmcnt(0)
	v_add_f64 v[8:9], v[0:1], v[4:5]
	v_add_f64 v[15:16], v[6:7], v[2:3]
	v_add_f64 v[17:18], v[0:1], -v[4:5]
	v_add_f64 v[0:1], v[2:3], -v[6:7]
	s_waitcnt vmcnt(0)
	v_fma_f64 v[2:3], v[17:18], v[13:14], v[8:9]
	v_fma_f64 v[4:5], v[15:16], v[13:14], v[0:1]
	v_fma_f64 v[6:7], -v[17:18], v[13:14], v[8:9]
	v_fma_f64 v[8:9], v[15:16], v[13:14], -v[0:1]
	v_fma_f64 v[0:1], -v[15:16], v[11:12], v[2:3]
	v_fma_f64 v[2:3], v[17:18], v[11:12], v[4:5]
	v_fma_f64 v[4:5], v[15:16], v[11:12], v[6:7]
	;; [unrolled: 1-line block ×3, first 2 shown]
	ds_write_b128 v86, v[0:3] offset:3744
	ds_write_b128 v10, v[4:7] offset:7488
	s_waitcnt lgkmcnt(0)
	s_barrier
	s_barrier
	ds_read_b128 v[0:3], v86
	ds_read_b128 v[32:35], v86 offset:864
	ds_read_b128 v[40:43], v86 offset:1728
	;; [unrolled: 1-line block ×12, first 2 shown]
	s_waitcnt lgkmcnt(0)
	s_barrier
	s_and_saveexec_b64 s[4:5], vcc
	s_cbranch_execz .LBB0_19
; %bb.18:
	v_add_f64 v[62:63], v[2:3], v[34:35]
	v_add_f64 v[64:65], v[0:1], v[32:33]
	;; [unrolled: 1-line block ×3, first 2 shown]
	v_add_f64 v[70:71], v[38:39], -v[30:31]
	v_add_f64 v[58:59], v[4:5], -v[8:9]
	v_add_f64 v[56:57], v[4:5], v[8:9]
	s_mov_b32 s6, 0x93053d00
	s_mov_b32 s7, 0xbfef11f4
	v_add_f64 v[66:67], v[62:63], v[42:43]
	v_add_f64 v[74:75], v[64:65], v[40:41]
	v_add_f64 v[64:65], v[36:37], -v[28:29]
	v_add_f64 v[62:63], v[36:37], v[28:29]
	v_add_f64 v[78:79], v[46:47], v[26:27]
	v_add_f64 v[76:77], v[46:47], -v[26:27]
	s_mov_b32 s10, 0xe00740e9
	s_mov_b32 s12, 0x4bc48dbf
	v_add_f64 v[82:83], v[66:67], v[50:51]
	v_add_f64 v[84:85], v[74:75], v[48:49]
	s_mov_b32 s11, 0x3fec55a7
	s_mov_b32 s13, 0x3fcea1e5
	;; [unrolled: 1-line block ×4, first 2 shown]
	v_add_f64 v[68:69], v[44:45], -v[24:25]
	v_add_f64 v[66:67], v[44:45], v[24:25]
	v_add_f64 v[87:88], v[82:83], v[46:47]
	v_add_f64 v[89:90], v[84:85], v[44:45]
	v_add_f64 v[84:85], v[34:35], v[14:15]
	v_add_f64 v[46:47], v[42:43], v[18:19]
	v_add_f64 v[82:83], v[32:33], -v[12:13]
	v_add_f64 v[34:35], v[34:35], -v[14:15]
	v_add_f64 v[80:81], v[50:51], v[22:23]
	v_add_f64 v[44:45], v[40:41], -v[16:17]
	v_add_f64 v[38:39], v[87:88], v[38:39]
	v_add_f64 v[36:37], v[89:90], v[36:37]
	v_add_f64 v[42:43], v[42:43], -v[18:19]
	v_add_f64 v[32:33], v[32:33], v[12:13]
	s_mov_b32 s14, 0x4267c47c
	s_mov_b32 s16, 0xd0032e0c
	;; [unrolled: 1-line block ×4, first 2 shown]
	v_add_f64 v[38:39], v[38:39], v[6:7]
	v_add_f64 v[4:5], v[36:37], v[4:5]
	s_mov_b32 s23, 0x3fddbe06
	s_mov_b32 s22, s14
	v_add_f64 v[74:75], v[48:49], -v[20:21]
	v_add_f64 v[50:51], v[50:51], -v[22:23]
	v_add_f64 v[40:41], v[40:41], v[16:17]
	v_mul_f64 v[87:88], v[80:81], s[16:17]
	v_add_f64 v[36:37], v[38:39], v[10:11]
	v_add_f64 v[4:5], v[4:5], v[8:9]
	v_mul_f64 v[8:9], v[84:85], s[6:7]
	s_mov_b32 s18, 0x24c2f84
	s_mov_b32 s24, 0x1ea71119
	;; [unrolled: 1-line block ×5, first 2 shown]
	v_add_f64 v[30:31], v[36:37], v[30:31]
	v_add_f64 v[4:5], v[4:5], v[28:29]
	v_mul_f64 v[28:29], v[34:35], s[20:21]
	v_mul_f64 v[36:37], v[46:47], s[10:11]
	v_fma_f64 v[38:39], v[82:83], s[12:13], v[8:9]
	s_mov_b32 s26, s18
	v_add_f64 v[48:49], v[48:49], v[20:21]
	v_mul_f64 v[91:92], v[50:51], s[26:27]
	v_add_f64 v[26:27], v[30:31], v[26:27]
	v_add_f64 v[4:5], v[4:5], v[24:25]
	v_mul_f64 v[24:25], v[42:43], s[22:23]
	v_fma_f64 v[30:31], v[32:33], s[6:7], v[28:29]
	v_fma_f64 v[89:90], v[44:45], s[14:15], v[36:37]
	v_add_f64 v[38:39], v[2:3], v[38:39]
	v_fma_f64 v[93:94], v[74:75], s[18:19], v[87:88]
	s_mov_b32 s42, 0x42a4c3d2
	v_add_f64 v[22:23], v[26:27], v[22:23]
	v_add_f64 v[4:5], v[4:5], v[20:21]
	v_mul_f64 v[26:27], v[78:79], s[24:25]
	v_fma_f64 v[20:21], v[40:41], s[10:11], v[24:25]
	v_add_f64 v[30:31], v[0:1], v[30:31]
	v_add_f64 v[38:39], v[89:90], v[38:39]
	s_mov_b32 s28, 0xb2365da1
	s_mov_b32 s43, 0xbfea55e2
	;; [unrolled: 1-line block ×5, first 2 shown]
	v_add_f64 v[60:61], v[6:7], v[10:11]
	v_add_f64 v[18:19], v[22:23], v[18:19]
	;; [unrolled: 1-line block ×4, first 2 shown]
	v_fma_f64 v[20:21], v[48:49], s[16:17], v[91:92]
	v_mul_f64 v[22:23], v[76:77], s[34:35]
	v_fma_f64 v[30:31], v[68:69], s[42:43], v[26:27]
	v_add_f64 v[38:39], v[93:94], v[38:39]
	v_mul_f64 v[89:90], v[72:73], s[28:29]
	v_fma_f64 v[8:9], v[82:83], s[20:21], v[8:9]
	s_mov_b32 s30, 0x2ef20147
	s_mov_b32 s38, 0xebaa3ed8
	;; [unrolled: 1-line block ×6, first 2 shown]
	v_add_f64 v[16:17], v[20:21], v[16:17]
	v_fma_f64 v[93:94], v[66:67], s[24:25], v[22:23]
	v_mul_f64 v[95:96], v[70:71], s[36:37]
	v_add_f64 v[20:21], v[6:7], -v[10:11]
	v_add_f64 v[6:7], v[18:19], v[14:15]
	v_add_f64 v[4:5], v[4:5], v[12:13]
	;; [unrolled: 1-line block ×3, first 2 shown]
	v_fma_f64 v[12:13], v[64:65], s[30:31], v[89:90]
	v_fma_f64 v[18:19], v[44:45], s[22:23], v[36:37]
	v_fma_f64 v[28:29], v[32:33], s[6:7], -v[28:29]
	v_add_f64 v[8:9], v[2:3], v[8:9]
	v_mul_f64 v[30:31], v[60:61], s[38:39]
	s_mov_b32 s44, 0x66966769
	s_mov_b32 s45, 0xbfefc445
	;; [unrolled: 1-line block ×4, first 2 shown]
	v_add_f64 v[14:15], v[93:94], v[16:17]
	v_fma_f64 v[16:17], v[62:63], s[28:29], v[95:96]
	v_fma_f64 v[24:25], v[40:41], s[10:11], -v[24:25]
	v_add_f64 v[28:29], v[0:1], v[28:29]
	v_mul_f64 v[36:37], v[20:21], s[40:41]
	v_add_f64 v[8:9], v[18:19], v[8:9]
	v_fma_f64 v[18:19], v[74:75], s[26:27], v[87:88]
	v_add_f64 v[10:11], v[12:13], v[10:11]
	v_fma_f64 v[12:13], v[58:59], s[44:45], v[30:31]
	v_mul_f64 v[38:39], v[84:85], s[16:17]
	v_add_f64 v[14:15], v[16:17], v[14:15]
	v_add_f64 v[16:17], v[24:25], v[28:29]
	v_fma_f64 v[24:25], v[48:49], s[16:17], -v[91:92]
	v_fma_f64 v[28:29], v[56:57], s[38:39], v[36:37]
	v_add_f64 v[18:19], v[18:19], v[8:9]
	v_fma_f64 v[26:27], v[68:69], s[34:35], v[26:27]
	v_add_f64 v[10:11], v[12:13], v[10:11]
	v_fma_f64 v[12:13], v[82:83], s[18:19], v[38:39]
	v_mul_f64 v[87:88], v[46:47], s[38:39]
	v_mul_f64 v[91:92], v[34:35], s[26:27]
	v_add_f64 v[16:17], v[24:25], v[16:17]
	v_fma_f64 v[22:23], v[66:67], s[24:25], -v[22:23]
	v_add_f64 v[8:9], v[28:29], v[14:15]
	v_add_f64 v[14:15], v[26:27], v[18:19]
	v_fma_f64 v[18:19], v[64:65], s[36:37], v[89:90]
	v_add_f64 v[12:13], v[2:3], v[12:13]
	v_fma_f64 v[24:25], v[44:45], s[44:45], v[87:88]
	v_fma_f64 v[26:27], v[32:33], s[16:17], v[91:92]
	v_mul_f64 v[28:29], v[42:43], s[40:41]
	v_add_f64 v[16:17], v[22:23], v[16:17]
	v_mul_f64 v[22:23], v[80:81], s[24:25]
	v_fma_f64 v[89:90], v[62:63], s[28:29], -v[95:96]
	v_add_f64 v[14:15], v[18:19], v[14:15]
	v_fma_f64 v[18:19], v[58:59], s[40:41], v[30:31]
	v_add_f64 v[12:13], v[24:25], v[12:13]
	v_add_f64 v[24:25], v[0:1], v[26:27]
	v_fma_f64 v[26:27], v[40:41], s[38:39], v[28:29]
	v_mul_f64 v[30:31], v[50:51], s[42:43]
	v_fma_f64 v[93:94], v[74:75], s[34:35], v[22:23]
	v_add_f64 v[16:17], v[89:90], v[16:17]
	v_mul_f64 v[89:90], v[78:79], s[6:7]
	v_add_f64 v[14:15], v[18:19], v[14:15]
	v_fma_f64 v[36:37], v[56:57], s[38:39], -v[36:37]
	v_fma_f64 v[38:39], v[82:83], s[26:27], v[38:39]
	v_add_f64 v[18:19], v[26:27], v[24:25]
	v_fma_f64 v[24:25], v[48:49], s[24:25], v[30:31]
	v_add_f64 v[26:27], v[93:94], v[12:13]
	v_mul_f64 v[93:94], v[76:77], s[12:13]
	v_fma_f64 v[95:96], v[68:69], s[20:21], v[89:90]
	v_fma_f64 v[87:88], v[44:45], s[40:41], v[87:88]
	v_add_f64 v[12:13], v[36:37], v[16:17]
	v_add_f64 v[38:39], v[2:3], v[38:39]
	v_mul_f64 v[16:17], v[72:73], s[10:11]
	v_add_f64 v[18:19], v[24:25], v[18:19]
	v_fma_f64 v[24:25], v[32:33], s[16:17], -v[91:92]
	v_fma_f64 v[36:37], v[66:67], s[6:7], v[93:94]
	v_mul_f64 v[91:92], v[70:71], s[22:23]
	v_fma_f64 v[28:29], v[40:41], s[38:39], -v[28:29]
	v_add_f64 v[26:27], v[95:96], v[26:27]
	v_add_f64 v[38:39], v[87:88], v[38:39]
	v_fma_f64 v[22:23], v[74:75], s[42:43], v[22:23]
	v_fma_f64 v[87:88], v[64:65], s[14:15], v[16:17]
	v_add_f64 v[24:25], v[0:1], v[24:25]
	v_add_f64 v[18:19], v[36:37], v[18:19]
	v_fma_f64 v[36:37], v[62:63], s[10:11], v[91:92]
	v_mul_f64 v[95:96], v[60:61], s[28:29]
	v_mul_f64 v[97:98], v[20:21], s[36:37]
	;; [unrolled: 1-line block ×3, first 2 shown]
	v_add_f64 v[22:23], v[22:23], v[38:39]
	v_fma_f64 v[38:39], v[68:69], s[12:13], v[89:90]
	v_add_f64 v[24:25], v[28:29], v[24:25]
	v_fma_f64 v[28:29], v[48:49], s[24:25], -v[30:31]
	v_add_f64 v[26:27], v[87:88], v[26:27]
	v_add_f64 v[30:31], v[36:37], v[18:19]
	v_fma_f64 v[18:19], v[58:59], s[30:31], v[95:96]
	v_mul_f64 v[36:37], v[84:85], s[28:29]
	v_fma_f64 v[87:88], v[56:57], s[28:29], v[97:98]
	v_add_f64 v[22:23], v[38:39], v[22:23]
	v_fma_f64 v[38:39], v[64:65], s[22:23], v[16:17]
	v_add_f64 v[24:25], v[28:29], v[24:25]
	v_fma_f64 v[28:29], v[66:67], s[6:7], -v[93:94]
	v_mul_f64 v[89:90], v[34:35], s[36:37]
	v_add_f64 v[18:19], v[18:19], v[26:27]
	v_fma_f64 v[26:27], v[82:83], s[30:31], v[36:37]
	v_mul_f64 v[93:94], v[46:47], s[16:17]
	v_add_f64 v[16:17], v[87:88], v[30:31]
	v_add_f64 v[22:23], v[38:39], v[22:23]
	v_mul_f64 v[38:39], v[42:43], s[18:19]
	v_add_f64 v[24:25], v[28:29], v[24:25]
	v_fma_f64 v[28:29], v[62:63], s[10:11], -v[91:92]
	v_fma_f64 v[30:31], v[32:33], s[28:29], v[89:90]
	v_add_f64 v[26:27], v[2:3], v[26:27]
	v_fma_f64 v[87:88], v[44:45], s[26:27], v[93:94]
	v_mul_f64 v[91:92], v[80:81], s[10:11]
	v_fma_f64 v[95:96], v[58:59], s[36:37], v[95:96]
	v_fma_f64 v[97:98], v[56:57], s[28:29], -v[97:98]
	v_fma_f64 v[99:100], v[40:41], s[16:17], v[38:39]
	v_add_f64 v[28:29], v[28:29], v[24:25]
	v_add_f64 v[30:31], v[0:1], v[30:31]
	v_mul_f64 v[103:104], v[78:79], s[38:39]
	v_add_f64 v[26:27], v[87:88], v[26:27]
	v_fma_f64 v[87:88], v[74:75], s[14:15], v[91:92]
	v_add_f64 v[24:25], v[95:96], v[22:23]
	v_fma_f64 v[95:96], v[48:49], s[10:11], v[101:102]
	v_fma_f64 v[93:94], v[44:45], s[18:19], v[93:94]
	v_add_f64 v[22:23], v[97:98], v[28:29]
	v_fma_f64 v[28:29], v[82:83], s[36:37], v[36:37]
	v_add_f64 v[30:31], v[99:100], v[30:31]
	v_mul_f64 v[99:100], v[76:77], s[44:45]
	v_add_f64 v[26:27], v[87:88], v[26:27]
	v_fma_f64 v[36:37], v[68:69], s[40:41], v[103:104]
	v_fma_f64 v[87:88], v[32:33], s[28:29], -v[89:90]
	v_mul_f64 v[89:90], v[72:73], s[6:7]
	v_mul_f64 v[97:98], v[70:71], s[12:13]
	v_add_f64 v[28:29], v[2:3], v[28:29]
	v_add_f64 v[30:31], v[95:96], v[30:31]
	v_fma_f64 v[95:96], v[66:67], s[38:39], v[99:100]
	v_fma_f64 v[38:39], v[40:41], s[16:17], -v[38:39]
	v_add_f64 v[26:27], v[36:37], v[26:27]
	v_add_f64 v[87:88], v[0:1], v[87:88]
	v_fma_f64 v[36:37], v[64:65], s[20:21], v[89:90]
	v_mul_f64 v[105:106], v[60:61], s[24:25]
	v_add_f64 v[28:29], v[93:94], v[28:29]
	v_fma_f64 v[91:92], v[74:75], s[22:23], v[91:92]
	v_add_f64 v[30:31], v[95:96], v[30:31]
	v_fma_f64 v[93:94], v[62:63], s[6:7], v[97:98]
	v_mul_f64 v[95:96], v[84:85], s[38:39]
	v_add_f64 v[38:39], v[38:39], v[87:88]
	v_fma_f64 v[87:88], v[48:49], s[10:11], -v[101:102]
	v_add_f64 v[26:27], v[36:37], v[26:27]
	v_fma_f64 v[36:37], v[58:59], s[42:43], v[105:106]
	v_mul_f64 v[101:102], v[20:21], s[34:35]
	v_add_f64 v[91:92], v[91:92], v[28:29]
	v_fma_f64 v[103:104], v[68:69], s[44:45], v[103:104]
	v_add_f64 v[30:31], v[93:94], v[30:31]
	v_fma_f64 v[89:90], v[64:65], s[12:13], v[89:90]
	v_add_f64 v[38:39], v[87:88], v[38:39]
	v_fma_f64 v[87:88], v[66:67], s[38:39], -v[99:100]
	v_add_f64 v[28:29], v[36:37], v[26:27]
	v_fma_f64 v[26:27], v[82:83], s[40:41], v[95:96]
	v_mul_f64 v[36:37], v[46:47], s[6:7]
	v_fma_f64 v[93:94], v[56:57], s[24:25], v[101:102]
	v_add_f64 v[91:92], v[103:104], v[91:92]
	v_mul_f64 v[99:100], v[34:35], s[44:45]
	v_fma_f64 v[95:96], v[82:83], s[44:45], v[95:96]
	v_add_f64 v[38:39], v[87:88], v[38:39]
	v_fma_f64 v[87:88], v[62:63], s[6:7], -v[97:98]
	v_add_f64 v[97:98], v[2:3], v[26:27]
	v_fma_f64 v[103:104], v[44:45], s[12:13], v[36:37]
	v_add_f64 v[26:27], v[93:94], v[30:31]
	v_mul_f64 v[30:31], v[80:81], s[28:29]
	v_add_f64 v[89:90], v[89:90], v[91:92]
	v_fma_f64 v[91:92], v[32:33], s[38:39], v[99:100]
	v_mul_f64 v[93:94], v[42:43], s[20:21]
	v_fma_f64 v[99:100], v[32:33], s[38:39], -v[99:100]
	v_add_f64 v[87:88], v[87:88], v[38:39]
	v_fma_f64 v[38:39], v[58:59], s[34:35], v[105:106]
	v_add_f64 v[97:98], v[103:104], v[97:98]
	v_fma_f64 v[103:104], v[74:75], s[36:37], v[30:31]
	v_mul_f64 v[107:108], v[50:51], s[30:31]
	v_add_f64 v[91:92], v[0:1], v[91:92]
	v_fma_f64 v[105:106], v[40:41], s[6:7], v[93:94]
	v_fma_f64 v[36:37], v[44:45], s[20:21], v[36:37]
	v_add_f64 v[95:96], v[2:3], v[95:96]
	v_fma_f64 v[93:94], v[40:41], s[6:7], -v[93:94]
	v_add_f64 v[99:100], v[0:1], v[99:100]
	v_mul_f64 v[109:110], v[78:79], s[10:11]
	v_add_f64 v[97:98], v[103:104], v[97:98]
	v_fma_f64 v[103:104], v[48:49], s[28:29], v[107:108]
	v_add_f64 v[91:92], v[105:106], v[91:92]
	v_mul_f64 v[105:106], v[76:77], s[22:23]
	v_add_f64 v[36:37], v[36:37], v[95:96]
	v_fma_f64 v[30:31], v[74:75], s[30:31], v[30:31]
	v_add_f64 v[93:94], v[93:94], v[99:100]
	v_fma_f64 v[95:96], v[48:49], s[28:29], -v[107:108]
	v_fma_f64 v[111:112], v[68:69], s[14:15], v[109:110]
	v_mul_f64 v[99:100], v[72:73], s[24:25]
	v_add_f64 v[91:92], v[103:104], v[91:92]
	v_fma_f64 v[103:104], v[66:67], s[10:11], v[105:106]
	v_mul_f64 v[107:108], v[70:71], s[42:43]
	v_add_f64 v[30:31], v[30:31], v[36:37]
	v_fma_f64 v[36:37], v[68:69], s[22:23], v[109:110]
	v_add_f64 v[93:94], v[95:96], v[93:94]
	v_fma_f64 v[95:96], v[66:67], s[10:11], -v[105:106]
	v_add_f64 v[97:98], v[111:112], v[97:98]
	v_fma_f64 v[105:106], v[64:65], s[34:35], v[99:100]
	v_add_f64 v[91:92], v[103:104], v[91:92]
	v_fma_f64 v[103:104], v[62:63], s[24:25], v[107:108]
	v_mul_f64 v[109:110], v[60:61], s[16:17]
	v_mul_f64 v[111:112], v[20:21], s[26:27]
	v_add_f64 v[30:31], v[36:37], v[30:31]
	v_fma_f64 v[36:37], v[64:65], s[42:43], v[99:100]
	v_add_f64 v[93:94], v[95:96], v[93:94]
	v_fma_f64 v[95:96], v[62:63], s[24:25], -v[107:108]
	v_fma_f64 v[99:100], v[56:57], s[24:25], -v[101:102]
	v_add_f64 v[38:39], v[38:39], v[89:90]
	v_add_f64 v[89:90], v[105:106], v[97:98]
	v_add_f64 v[91:92], v[103:104], v[91:92]
	v_fma_f64 v[101:102], v[56:57], s[16:17], v[111:112]
	v_add_f64 v[30:31], v[36:37], v[30:31]
	v_fma_f64 v[103:104], v[56:57], s[16:17], -v[111:112]
	v_add_f64 v[95:96], v[95:96], v[93:94]
	v_fma_f64 v[93:94], v[58:59], s[26:27], v[109:110]
	v_mul_f64 v[105:106], v[84:85], s[24:25]
	v_fma_f64 v[97:98], v[58:59], s[18:19], v[109:110]
	v_add_f64 v[36:37], v[99:100], v[87:88]
	v_mul_f64 v[84:85], v[84:85], s[10:11]
	v_add_f64 v[87:88], v[101:102], v[91:92]
	v_mul_f64 v[107:108], v[80:81], s[6:7]
	v_add_f64 v[91:92], v[103:104], v[95:96]
	v_add_f64 v[93:94], v[93:94], v[30:31]
	v_fma_f64 v[30:31], v[82:83], s[34:35], v[105:106]
	v_mul_f64 v[95:96], v[46:47], s[28:29]
	v_add_f64 v[89:90], v[97:98], v[89:90]
	v_mul_f64 v[97:98], v[34:35], s[42:43]
	v_fma_f64 v[99:100], v[82:83], s[42:43], v[105:106]
	v_fma_f64 v[101:102], v[82:83], s[22:23], v[84:85]
	v_fma_f64 v[82:83], v[82:83], s[14:15], v[84:85]
	v_mul_f64 v[34:35], v[34:35], s[14:15]
	v_add_f64 v[30:31], v[2:3], v[30:31]
	v_fma_f64 v[84:85], v[44:45], s[30:31], v[95:96]
	v_mul_f64 v[105:106], v[42:43], s[36:37]
	v_fma_f64 v[103:104], v[32:33], s[24:25], v[97:98]
	v_fma_f64 v[97:98], v[32:33], s[24:25], -v[97:98]
	v_mul_f64 v[117:118], v[72:73], s[38:39]
	v_mul_f64 v[111:112], v[50:51], s[20:21]
	v_fma_f64 v[113:114], v[32:33], s[10:11], v[34:35]
	v_fma_f64 v[32:33], v[32:33], s[10:11], -v[34:35]
	v_add_f64 v[30:31], v[84:85], v[30:31]
	v_fma_f64 v[34:35], v[74:75], s[12:13], v[107:108]
	v_mul_f64 v[84:85], v[78:79], s[16:17]
	v_add_f64 v[103:104], v[0:1], v[103:104]
	v_add_f64 v[99:100], v[2:3], v[99:100]
	;; [unrolled: 1-line block ×4, first 2 shown]
	v_fma_f64 v[95:96], v[44:45], s[36:37], v[95:96]
	v_add_f64 v[0:1], v[0:1], v[32:33]
	v_add_f64 v[30:31], v[34:35], v[30:31]
	v_fma_f64 v[34:35], v[68:69], s[26:27], v[84:85]
	v_fma_f64 v[32:33], v[40:41], s[28:29], -v[105:106]
	v_mul_f64 v[46:47], v[46:47], s[24:25]
	v_add_f64 v[101:102], v[2:3], v[101:102]
	v_add_f64 v[2:3], v[2:3], v[82:83]
	;; [unrolled: 1-line block ×3, first 2 shown]
	v_fma_f64 v[99:100], v[74:75], s[20:21], v[107:108]
	v_mul_f64 v[80:81], v[80:81], s[38:39]
	v_add_f64 v[30:31], v[34:35], v[30:31]
	v_fma_f64 v[34:35], v[64:65], s[44:45], v[117:118]
	v_add_f64 v[32:33], v[32:33], v[97:98]
	v_fma_f64 v[97:98], v[44:45], s[42:43], v[46:47]
	v_mul_f64 v[115:116], v[76:77], s[18:19]
	v_fma_f64 v[84:85], v[68:69], s[18:19], v[84:85]
	v_add_f64 v[95:96], v[99:100], v[95:96]
	v_mul_f64 v[50:51], v[50:51], s[44:45]
	v_mul_f64 v[78:79], v[78:79], s[28:29]
	v_add_f64 v[30:31], v[34:35], v[30:31]
	v_mul_f64 v[34:35], v[42:43], s[42:43]
	v_fma_f64 v[42:43], v[48:49], s[6:7], -v[111:112]
	v_add_f64 v[2:3], v[97:98], v[2:3]
	v_fma_f64 v[109:110], v[40:41], s[28:29], v[105:106]
	v_mul_f64 v[82:83], v[70:71], s[40:41]
	v_fma_f64 v[97:98], v[66:67], s[16:17], -v[115:116]
	v_add_f64 v[84:85], v[84:85], v[95:96]
	v_fma_f64 v[95:96], v[48:49], s[38:39], -v[50:51]
	v_fma_f64 v[99:100], v[40:41], s[24:25], -v[34:35]
	v_add_f64 v[32:33], v[42:43], v[32:33]
	v_fma_f64 v[42:43], v[74:75], s[44:45], v[80:81]
	v_mul_f64 v[76:77], v[76:77], s[36:37]
	v_mul_f64 v[72:73], v[72:73], s[16:17]
	v_fma_f64 v[44:45], v[44:45], s[34:35], v[46:47]
	v_fma_f64 v[34:35], v[40:41], s[24:25], v[34:35]
	v_add_f64 v[103:104], v[109:110], v[103:104]
	v_add_f64 v[0:1], v[99:100], v[0:1]
	v_fma_f64 v[109:110], v[48:49], s[6:7], v[111:112]
	v_add_f64 v[2:3], v[42:43], v[2:3]
	v_fma_f64 v[42:43], v[68:69], s[36:37], v[78:79]
	v_fma_f64 v[105:106], v[62:63], s[38:39], v[82:83]
	v_add_f64 v[32:33], v[97:98], v[32:33]
	v_fma_f64 v[46:47], v[66:67], s[28:29], -v[76:77]
	v_mul_f64 v[70:71], v[70:71], s[26:27]
	v_add_f64 v[0:1], v[95:96], v[0:1]
	v_fma_f64 v[82:83], v[62:63], s[38:39], -v[82:83]
	v_fma_f64 v[40:41], v[64:65], s[26:27], v[72:73]
	v_add_f64 v[2:3], v[42:43], v[2:3]
	v_fma_f64 v[42:43], v[74:75], s[40:41], v[80:81]
	v_add_f64 v[44:45], v[44:45], v[101:102]
	;; [unrolled: 2-line block ×3, first 2 shown]
	v_add_f64 v[103:104], v[109:110], v[103:104]
	v_fma_f64 v[109:110], v[66:67], s[16:17], v[115:116]
	v_add_f64 v[0:1], v[46:47], v[0:1]
	v_fma_f64 v[46:47], v[62:63], s[16:17], -v[70:71]
	v_add_f64 v[50:51], v[82:83], v[32:33]
	v_fma_f64 v[32:33], v[68:69], s[30:31], v[78:79]
	v_add_f64 v[42:43], v[42:43], v[44:45]
	v_add_f64 v[40:41], v[40:41], v[2:3]
	v_fma_f64 v[2:3], v[66:67], s[28:29], v[76:77]
	v_add_f64 v[34:35], v[48:49], v[34:35]
	v_mul_f64 v[44:45], v[60:61], s[10:11]
	v_mul_f64 v[48:49], v[60:61], s[6:7]
	;; [unrolled: 1-line block ×3, first 2 shown]
	v_fma_f64 v[99:100], v[64:65], s[40:41], v[117:118]
	v_mul_f64 v[20:21], v[20:21], s[22:23]
	v_add_f64 v[103:104], v[109:110], v[103:104]
	v_add_f64 v[0:1], v[46:47], v[0:1]
	v_fma_f64 v[46:47], v[64:65], s[18:19], v[72:73]
	v_add_f64 v[32:33], v[32:33], v[42:43]
	v_fma_f64 v[42:43], v[62:63], s[16:17], v[70:71]
	v_add_f64 v[2:3], v[2:3], v[34:35]
	v_fma_f64 v[62:63], v[58:59], s[14:15], v[44:45]
	v_fma_f64 v[44:45], v[58:59], s[22:23], v[44:45]
	v_fma_f64 v[34:35], v[58:59], s[20:21], v[48:49]
	;; [unrolled: 1-line block ×3, first 2 shown]
	v_fma_f64 v[58:59], v[56:57], s[6:7], -v[60:61]
	v_add_f64 v[74:75], v[99:100], v[84:85]
	v_fma_f64 v[64:65], v[56:57], s[10:11], -v[20:21]
	v_add_f64 v[103:104], v[105:106], v[103:104]
	v_fma_f64 v[20:21], v[56:57], s[10:11], v[20:21]
	v_add_f64 v[46:47], v[46:47], v[32:33]
	v_fma_f64 v[56:57], v[56:57], s[6:7], v[60:61]
	v_add_f64 v[60:61], v[42:43], v[2:3]
	v_add_f64 v[42:43], v[34:35], v[40:41]
	;; [unrolled: 1-line block ×6, first 2 shown]
	s_movk_i32 s6, 0xc0
	v_add_f64 v[0:1], v[20:21], v[103:104]
	v_mad_u32_u24 v20, v52, s6, v86
	v_add_f64 v[46:47], v[48:49], v[46:47]
	v_add_f64 v[44:45], v[56:57], v[60:61]
	ds_write_b128 v20, v[4:7]
	ds_write_b128 v20, v[40:43] offset:16
	ds_write_b128 v20, v[30:33] offset:32
	;; [unrolled: 1-line block ×12, first 2 shown]
.LBB0_19:
	s_or_b64 exec, exec, s[4:5]
	s_movk_i32 s4, 0x4f
	v_mul_lo_u16_sdwa v0, v52, s4 dst_sel:DWORD dst_unused:UNUSED_PAD src0_sel:BYTE_0 src1_sel:DWORD
	v_lshrrev_b16_e32 v0, 10, v0
	v_mul_lo_u16_e32 v1, 13, v0
	v_sub_u16_e32 v1, v52, v1
	v_mov_b32_e32 v49, 5
	v_add_u32_e32 v2, 0x75, v52
	v_lshlrev_b32_sdwa v11, v49, v1 dst_sel:DWORD dst_unused:UNUSED_PAD src0_sel:DWORD src1_sel:BYTE_0
	s_waitcnt lgkmcnt(0)
	s_barrier
	global_load_dwordx4 v[3:6], v11, s[8:9] offset:16
	global_load_dwordx4 v[7:10], v11, s[8:9]
	v_mul_lo_u16_sdwa v11, v2, s4 dst_sel:DWORD dst_unused:UNUSED_PAD src0_sel:BYTE_0 src1_sel:DWORD
	v_lshrrev_b16_e32 v43, 10, v11
	v_mul_lo_u16_e32 v11, 13, v43
	v_sub_u16_e32 v44, v2, v11
	v_lshlrev_b32_sdwa v19, v49, v44 dst_sel:DWORD dst_unused:UNUSED_PAD src0_sel:DWORD src1_sel:BYTE_0
	global_load_dwordx4 v[11:14], v19, s[8:9]
	global_load_dwordx4 v[15:18], v19, s[8:9] offset:16
	s_movk_i32 s10, 0xa5
	v_mul_lo_u16_sdwa v45, v52, s10 dst_sel:DWORD dst_unused:UNUSED_PAD src0_sel:BYTE_0 src1_sel:DWORD
	v_sub_u16_sdwa v46, v52, v45 dst_sel:DWORD dst_unused:UNUSED_PAD src0_sel:DWORD src1_sel:BYTE_1
	ds_read_b128 v[19:22], v86
	ds_read_b128 v[23:26], v86 offset:1872
	ds_read_b128 v[27:30], v86 offset:3744
	;; [unrolled: 1-line block ×5, first 2 shown]
	v_lshrrev_b16_e32 v46, 1, v46
	v_mov_b32_e32 v51, 4
	v_and_b32_e32 v46, 0x7f, v46
	v_mul_u32_u24_e32 v0, 0x270, v0
	v_lshlrev_b32_sdwa v1, v51, v1 dst_sel:DWORD dst_unused:UNUSED_PAD src0_sel:DWORD src1_sel:BYTE_0
	v_add_u16_sdwa v45, v46, v45 dst_sel:DWORD dst_unused:UNUSED_PAD src0_sel:DWORD src1_sel:BYTE_1
	v_mul_u32_u24_e32 v43, 0x270, v43
	v_lshlrev_b32_sdwa v44, v51, v44 dst_sel:DWORD dst_unused:UNUSED_PAD src0_sel:DWORD src1_sel:BYTE_0
	v_add3_u32 v50, 0, v0, v1
	v_lshrrev_b16_e32 v0, 5, v45
	v_add3_u32 v53, 0, v43, v44
	v_and_b32_e32 v56, 7, v0
	s_mov_b32 s4, 0xe8584caa
	s_mov_b32 s5, 0x3febb67a
	;; [unrolled: 1-line block ×4, first 2 shown]
	v_mul_lo_u16_e32 v57, 39, v56
	s_waitcnt vmcnt(0) lgkmcnt(0)
	s_barrier
	s_movk_i32 s10, 0xea0
	v_mul_f64 v[43:44], v[37:38], v[5:6]
	v_mul_f64 v[0:1], v[29:30], v[9:10]
	;; [unrolled: 1-line block ×8, first 2 shown]
	v_fma_f64 v[0:1], v[27:28], v[7:8], -v[0:1]
	v_fma_f64 v[7:8], v[29:30], v[7:8], v[9:10]
	v_fma_f64 v[9:10], v[35:36], v[3:4], -v[43:44]
	v_fma_f64 v[5:6], v[37:38], v[3:4], v[5:6]
	;; [unrolled: 2-line block ×4, first 2 shown]
	v_add_f64 v[17:18], v[19:20], v[0:1]
	v_add_f64 v[31:32], v[21:22], v[7:8]
	;; [unrolled: 1-line block ×3, first 2 shown]
	v_add_f64 v[29:30], v[7:8], -v[5:6]
	v_add_f64 v[7:8], v[7:8], v[5:6]
	v_add_f64 v[39:40], v[25:26], v[11:12]
	;; [unrolled: 1-line block ×3, first 2 shown]
	v_add_f64 v[37:38], v[11:12], -v[15:16]
	v_add_f64 v[11:12], v[11:12], v[15:16]
	v_add_f64 v[0:1], v[0:1], -v[9:10]
	v_add_f64 v[33:34], v[23:24], v[3:4]
	v_add_f64 v[41:42], v[3:4], -v[13:14]
	v_fma_f64 v[19:20], v[27:28], -0.5, v[19:20]
	v_add_f64 v[3:4], v[17:18], v[9:10]
	v_fma_f64 v[17:18], v[7:8], -0.5, v[21:22]
	v_fma_f64 v[21:22], v[35:36], -0.5, v[23:24]
	;; [unrolled: 1-line block ×3, first 2 shown]
	v_add_f64 v[5:6], v[31:32], v[5:6]
	v_add_f64 v[7:8], v[33:34], v[13:14]
	;; [unrolled: 1-line block ×3, first 2 shown]
	v_fma_f64 v[11:12], v[29:30], s[4:5], v[19:20]
	v_fma_f64 v[15:16], v[29:30], s[6:7], v[19:20]
	v_fma_f64 v[13:14], v[0:1], s[6:7], v[17:18]
	v_fma_f64 v[17:18], v[0:1], s[4:5], v[17:18]
	v_fma_f64 v[19:20], v[37:38], s[4:5], v[21:22]
	v_fma_f64 v[23:24], v[37:38], s[6:7], v[21:22]
	v_fma_f64 v[21:22], v[41:42], s[6:7], v[25:26]
	v_sub_u16_e32 v43, v52, v57
	v_fma_f64 v[25:26], v[41:42], s[4:5], v[25:26]
	v_mul_u32_u24_sdwa v0, v43, v49 dst_sel:DWORD dst_unused:UNUSED_PAD src0_sel:BYTE_0 src1_sel:DWORD
	v_lshlrev_b32_e32 v0, 4, v0
	ds_write_b128 v50, v[3:6]
	ds_write_b128 v50, v[11:14] offset:208
	ds_write_b128 v50, v[15:18] offset:416
	ds_write_b128 v53, v[7:10]
	ds_write_b128 v53, v[19:22] offset:208
	ds_write_b128 v53, v[23:26] offset:416
	s_waitcnt lgkmcnt(0)
	s_barrier
	global_load_dwordx4 v[3:6], v0, s[8:9] offset:416
	global_load_dwordx4 v[7:10], v0, s[8:9] offset:432
	;; [unrolled: 1-line block ×5, first 2 shown]
	v_lshlrev_b32_e32 v0, 1, v52
	v_mov_b32_e32 v1, 0
	v_lshlrev_b64 v[23:24], 4, v[0:1]
	v_mov_b32_e32 v53, s9
	v_add_co_u32_e32 v49, vcc, s8, v23
	v_lshlrev_b32_e32 v0, 1, v2
	v_addc_co_u32_e32 v50, vcc, v53, v24, vcc
	v_lshlrev_b32_sdwa v2, v51, v43 dst_sel:DWORD dst_unused:UNUSED_PAD src0_sel:DWORD src1_sel:BYTE_0
	ds_read_b128 v[23:26], v86
	ds_read_b128 v[27:30], v86 offset:1872
	ds_read_b128 v[31:34], v86 offset:3744
	;; [unrolled: 1-line block ×5, first 2 shown]
	v_lshlrev_b64 v[47:48], 4, v[0:1]
	v_mul_u32_u24_sdwa v0, v56, s10 dst_sel:DWORD dst_unused:UNUSED_PAD src0_sel:WORD_0 src1_sel:DWORD
	v_add3_u32 v0, 0, v0, v2
	s_waitcnt vmcnt(0) lgkmcnt(0)
	s_barrier
	v_mul_f64 v[56:57], v[29:30], v[5:6]
	v_mul_f64 v[5:6], v[27:28], v[5:6]
	;; [unrolled: 1-line block ×10, first 2 shown]
	v_fma_f64 v[35:36], v[35:36], v[11:12], -v[60:61]
	v_fma_f64 v[11:12], v[37:38], v[11:12], v[13:14]
	v_fma_f64 v[13:14], v[45:46], v[15:16], v[62:63]
	v_fma_f64 v[15:16], v[43:44], v[15:16], -v[17:18]
	v_fma_f64 v[31:32], v[31:32], v[7:8], -v[58:59]
	v_fma_f64 v[7:8], v[33:34], v[7:8], v[9:10]
	v_fma_f64 v[9:10], v[39:40], v[19:20], -v[64:65]
	v_fma_f64 v[17:18], v[41:42], v[19:20], v[21:22]
	;; [unrolled: 2-line block ×3, first 2 shown]
	v_add_f64 v[4:5], v[11:12], v[13:14]
	v_add_f64 v[21:22], v[35:36], v[15:16]
	;; [unrolled: 1-line block ×3, first 2 shown]
	v_add_f64 v[39:40], v[11:12], -v[13:14]
	v_add_f64 v[29:30], v[31:32], v[9:10]
	v_add_f64 v[41:42], v[35:36], -v[15:16]
	v_add_f64 v[33:34], v[7:8], -v[17:18]
	v_add_f64 v[37:38], v[25:26], v[7:8]
	v_fma_f64 v[4:5], v[4:5], -0.5, v[2:3]
	v_fma_f64 v[21:22], v[21:22], -0.5, v[19:20]
	v_add_f64 v[6:7], v[7:8], v[17:18]
	v_add_f64 v[31:32], v[31:32], -v[9:10]
	v_add_f64 v[2:3], v[2:3], v[11:12]
	v_add_f64 v[8:9], v[27:28], v[9:10]
	v_fma_f64 v[10:11], v[29:30], -0.5, v[23:24]
	v_add_f64 v[19:20], v[19:20], v[35:36]
	v_fma_f64 v[23:24], v[41:42], s[6:7], v[4:5]
	v_fma_f64 v[27:28], v[39:40], s[6:7], v[21:22]
	;; [unrolled: 1-line block ×4, first 2 shown]
	v_fma_f64 v[6:7], v[6:7], -0.5, v[25:26]
	v_add_f64 v[12:13], v[2:3], v[13:14]
	v_add_f64 v[17:18], v[37:38], v[17:18]
	;; [unrolled: 1-line block ×3, first 2 shown]
	v_mul_f64 v[2:3], v[23:24], s[4:5]
	v_mul_f64 v[19:20], v[27:28], -0.5
	v_mul_f64 v[25:26], v[21:22], s[6:7]
	v_mul_f64 v[29:30], v[4:5], -0.5
	v_fma_f64 v[35:36], v[33:34], s[4:5], v[10:11]
	v_fma_f64 v[37:38], v[31:32], s[6:7], v[6:7]
	;; [unrolled: 1-line block ×4, first 2 shown]
	v_fma_f64 v[21:22], v[21:22], 0.5, v[2:3]
	v_fma_f64 v[39:40], v[4:5], s[4:5], v[19:20]
	v_fma_f64 v[24:25], v[23:24], 0.5, v[25:26]
	v_fma_f64 v[26:27], v[27:28], s[6:7], v[29:30]
	v_add_f64 v[2:3], v[8:9], v[15:16]
	v_add_f64 v[4:5], v[17:18], v[12:13]
	v_add_f64 v[6:7], v[8:9], -v[15:16]
	v_add_f64 v[8:9], v[17:18], -v[12:13]
	v_add_f64 v[10:11], v[35:36], v[21:22]
	v_add_f64 v[14:15], v[33:34], v[39:40]
	;; [unrolled: 1-line block ×4, first 2 shown]
	v_add_f64 v[18:19], v[35:36], -v[21:22]
	v_add_f64 v[20:21], v[37:38], -v[24:25]
	;; [unrolled: 1-line block ×4, first 2 shown]
	ds_write_b128 v0, v[2:5]
	ds_write_b128 v0, v[6:9] offset:1872
	ds_write_b128 v0, v[10:13] offset:624
	;; [unrolled: 1-line block ×5, first 2 shown]
	s_waitcnt lgkmcnt(0)
	s_barrier
	global_load_dwordx4 v[2:5], v[49:50], off offset:3552
	global_load_dwordx4 v[6:9], v[49:50], off offset:3536
	v_add_co_u32_e32 v18, vcc, s8, v47
	v_addc_co_u32_e32 v19, vcc, v53, v48, vcc
	global_load_dwordx4 v[10:13], v[18:19], off offset:3536
	global_load_dwordx4 v[14:17], v[18:19], off offset:3552
	ds_read_b128 v[18:21], v86 offset:3744
	ds_read_b128 v[22:25], v86 offset:7488
	ds_read_b128 v[26:29], v86
	ds_read_b128 v[30:33], v86 offset:1872
	ds_read_b128 v[34:37], v86 offset:5616
	;; [unrolled: 1-line block ×3, first 2 shown]
	s_waitcnt vmcnt(0) lgkmcnt(0)
	s_barrier
	v_mul_f64 v[44:45], v[24:25], v[4:5]
	v_mul_f64 v[42:43], v[20:21], v[8:9]
	;; [unrolled: 1-line block ×8, first 2 shown]
	v_fma_f64 v[18:19], v[18:19], v[6:7], -v[42:43]
	v_fma_f64 v[6:7], v[20:21], v[6:7], v[8:9]
	v_fma_f64 v[8:9], v[22:23], v[2:3], -v[44:45]
	v_fma_f64 v[4:5], v[24:25], v[2:3], v[4:5]
	;; [unrolled: 2-line block ×4, first 2 shown]
	v_add_f64 v[16:17], v[26:27], v[18:19]
	v_add_f64 v[24:25], v[28:29], v[6:7]
	;; [unrolled: 1-line block ×3, first 2 shown]
	v_add_f64 v[22:23], v[6:7], -v[4:5]
	v_add_f64 v[6:7], v[6:7], v[4:5]
	v_add_f64 v[40:41], v[32:33], v[10:11]
	;; [unrolled: 1-line block ×3, first 2 shown]
	v_add_f64 v[38:39], v[10:11], -v[14:15]
	v_add_f64 v[10:11], v[10:11], v[14:15]
	v_add_f64 v[34:35], v[30:31], v[2:3]
	v_add_f64 v[18:19], v[18:19], -v[8:9]
	v_add_f64 v[42:43], v[2:3], -v[12:13]
	v_fma_f64 v[20:21], v[20:21], -0.5, v[26:27]
	v_add_f64 v[2:3], v[16:17], v[8:9]
	v_fma_f64 v[16:17], v[6:7], -0.5, v[28:29]
	v_add_f64 v[4:5], v[24:25], v[4:5]
	v_fma_f64 v[24:25], v[36:37], -0.5, v[30:31]
	v_fma_f64 v[26:27], v[10:11], -0.5, v[32:33]
	v_add_f64 v[6:7], v[34:35], v[12:13]
	v_add_f64 v[8:9], v[40:41], v[14:15]
	v_fma_f64 v[10:11], v[22:23], s[4:5], v[20:21]
	v_fma_f64 v[14:15], v[22:23], s[6:7], v[20:21]
	;; [unrolled: 1-line block ×8, first 2 shown]
	ds_write_b128 v86, v[2:5]
	ds_write_b128 v86, v[6:9] offset:1872
	ds_write_b128 v86, v[10:13] offset:3744
	ds_write_b128 v86, v[14:17] offset:7488
	ds_write_b128 v86, v[18:21] offset:5616
	ds_write_b128 v86, v[22:25] offset:9360
	s_waitcnt lgkmcnt(0)
	s_barrier
	s_and_saveexec_b64 s[4:5], s[0:1]
	s_cbranch_execz .LBB0_21
; %bb.20:
	v_lshl_add_u32 v12, v52, 4, 0
	v_mov_b32_e32 v53, v1
	ds_read_b128 v[2:5], v12
	v_mov_b32_e32 v0, s3
	v_add_co_u32_e32 v13, vcc, s2, v54
	v_lshlrev_b64 v[6:7], 4, v[52:53]
	v_addc_co_u32_e32 v14, vcc, v0, v55, vcc
	v_add_co_u32_e32 v10, vcc, v13, v6
	v_addc_co_u32_e32 v11, vcc, v14, v7, vcc
	ds_read_b128 v[6:9], v12 offset:1872
	v_add_u32_e32 v0, 0x75, v52
	s_waitcnt lgkmcnt(1)
	global_store_dwordx4 v[10:11], v[2:5], off
	s_nop 0
	v_lshlrev_b64 v[2:3], 4, v[0:1]
	v_add_u32_e32 v0, 0xea, v52
	v_add_co_u32_e32 v2, vcc, v13, v2
	v_addc_co_u32_e32 v3, vcc, v14, v3, vcc
	s_waitcnt lgkmcnt(0)
	global_store_dwordx4 v[2:3], v[6:9], off
	ds_read_b128 v[2:5], v12 offset:3744
	v_lshlrev_b64 v[6:7], 4, v[0:1]
	v_add_u32_e32 v0, 0x15f, v52
	v_add_co_u32_e32 v10, vcc, v13, v6
	v_addc_co_u32_e32 v11, vcc, v14, v7, vcc
	ds_read_b128 v[6:9], v12 offset:5616
	s_waitcnt lgkmcnt(1)
	global_store_dwordx4 v[10:11], v[2:5], off
	s_nop 0
	v_lshlrev_b64 v[2:3], 4, v[0:1]
	v_add_u32_e32 v0, 0x1d4, v52
	v_add_co_u32_e32 v2, vcc, v13, v2
	v_addc_co_u32_e32 v3, vcc, v14, v3, vcc
	s_waitcnt lgkmcnt(0)
	global_store_dwordx4 v[2:3], v[6:9], off
	ds_read_b128 v[2:5], v12 offset:7488
	v_lshlrev_b64 v[6:7], 4, v[0:1]
	v_add_u32_e32 v0, 0x249, v52
	v_add_co_u32_e32 v10, vcc, v13, v6
	v_addc_co_u32_e32 v11, vcc, v14, v7, vcc
	ds_read_b128 v[6:9], v12 offset:9360
	v_lshlrev_b64 v[0:1], 4, v[0:1]
	s_waitcnt lgkmcnt(1)
	global_store_dwordx4 v[10:11], v[2:5], off
	v_add_co_u32_e32 v0, vcc, v13, v0
	v_addc_co_u32_e32 v1, vcc, v14, v1, vcc
	s_waitcnt lgkmcnt(0)
	global_store_dwordx4 v[0:1], v[6:9], off
.LBB0_21:
	s_endpgm
	.section	.rodata,"a",@progbits
	.p2align	6, 0x0
	.amdhsa_kernel fft_rtc_fwd_len702_factors_13_3_6_3_wgs_117_tpt_117_halfLds_dp_ip_CI_unitstride_sbrr_C2R_dirReg
		.amdhsa_group_segment_fixed_size 0
		.amdhsa_private_segment_fixed_size 0
		.amdhsa_kernarg_size 88
		.amdhsa_user_sgpr_count 6
		.amdhsa_user_sgpr_private_segment_buffer 1
		.amdhsa_user_sgpr_dispatch_ptr 0
		.amdhsa_user_sgpr_queue_ptr 0
		.amdhsa_user_sgpr_kernarg_segment_ptr 1
		.amdhsa_user_sgpr_dispatch_id 0
		.amdhsa_user_sgpr_flat_scratch_init 0
		.amdhsa_user_sgpr_private_segment_size 0
		.amdhsa_uses_dynamic_stack 0
		.amdhsa_system_sgpr_private_segment_wavefront_offset 0
		.amdhsa_system_sgpr_workgroup_id_x 1
		.amdhsa_system_sgpr_workgroup_id_y 0
		.amdhsa_system_sgpr_workgroup_id_z 0
		.amdhsa_system_sgpr_workgroup_info 0
		.amdhsa_system_vgpr_workitem_id 0
		.amdhsa_next_free_vgpr 119
		.amdhsa_next_free_sgpr 46
		.amdhsa_reserve_vcc 1
		.amdhsa_reserve_flat_scratch 0
		.amdhsa_float_round_mode_32 0
		.amdhsa_float_round_mode_16_64 0
		.amdhsa_float_denorm_mode_32 3
		.amdhsa_float_denorm_mode_16_64 3
		.amdhsa_dx10_clamp 1
		.amdhsa_ieee_mode 1
		.amdhsa_fp16_overflow 0
		.amdhsa_exception_fp_ieee_invalid_op 0
		.amdhsa_exception_fp_denorm_src 0
		.amdhsa_exception_fp_ieee_div_zero 0
		.amdhsa_exception_fp_ieee_overflow 0
		.amdhsa_exception_fp_ieee_underflow 0
		.amdhsa_exception_fp_ieee_inexact 0
		.amdhsa_exception_int_div_zero 0
	.end_amdhsa_kernel
	.text
.Lfunc_end0:
	.size	fft_rtc_fwd_len702_factors_13_3_6_3_wgs_117_tpt_117_halfLds_dp_ip_CI_unitstride_sbrr_C2R_dirReg, .Lfunc_end0-fft_rtc_fwd_len702_factors_13_3_6_3_wgs_117_tpt_117_halfLds_dp_ip_CI_unitstride_sbrr_C2R_dirReg
                                        ; -- End function
	.section	.AMDGPU.csdata,"",@progbits
; Kernel info:
; codeLenInByte = 8080
; NumSgprs: 50
; NumVgprs: 119
; ScratchSize: 0
; MemoryBound: 0
; FloatMode: 240
; IeeeMode: 1
; LDSByteSize: 0 bytes/workgroup (compile time only)
; SGPRBlocks: 6
; VGPRBlocks: 29
; NumSGPRsForWavesPerEU: 50
; NumVGPRsForWavesPerEU: 119
; Occupancy: 2
; WaveLimiterHint : 1
; COMPUTE_PGM_RSRC2:SCRATCH_EN: 0
; COMPUTE_PGM_RSRC2:USER_SGPR: 6
; COMPUTE_PGM_RSRC2:TRAP_HANDLER: 0
; COMPUTE_PGM_RSRC2:TGID_X_EN: 1
; COMPUTE_PGM_RSRC2:TGID_Y_EN: 0
; COMPUTE_PGM_RSRC2:TGID_Z_EN: 0
; COMPUTE_PGM_RSRC2:TIDIG_COMP_CNT: 0
	.type	__hip_cuid_51cba9b726acdfe1,@object ; @__hip_cuid_51cba9b726acdfe1
	.section	.bss,"aw",@nobits
	.globl	__hip_cuid_51cba9b726acdfe1
__hip_cuid_51cba9b726acdfe1:
	.byte	0                               ; 0x0
	.size	__hip_cuid_51cba9b726acdfe1, 1

	.ident	"AMD clang version 19.0.0git (https://github.com/RadeonOpenCompute/llvm-project roc-6.4.0 25133 c7fe45cf4b819c5991fe208aaa96edf142730f1d)"
	.section	".note.GNU-stack","",@progbits
	.addrsig
	.addrsig_sym __hip_cuid_51cba9b726acdfe1
	.amdgpu_metadata
---
amdhsa.kernels:
  - .args:
      - .actual_access:  read_only
        .address_space:  global
        .offset:         0
        .size:           8
        .value_kind:     global_buffer
      - .offset:         8
        .size:           8
        .value_kind:     by_value
      - .actual_access:  read_only
        .address_space:  global
        .offset:         16
        .size:           8
        .value_kind:     global_buffer
      - .actual_access:  read_only
        .address_space:  global
        .offset:         24
        .size:           8
        .value_kind:     global_buffer
      - .offset:         32
        .size:           8
        .value_kind:     by_value
      - .actual_access:  read_only
        .address_space:  global
        .offset:         40
        .size:           8
        .value_kind:     global_buffer
      - .actual_access:  read_only
        .address_space:  global
        .offset:         48
        .size:           8
        .value_kind:     global_buffer
      - .offset:         56
        .size:           4
        .value_kind:     by_value
      - .actual_access:  read_only
        .address_space:  global
        .offset:         64
        .size:           8
        .value_kind:     global_buffer
      - .actual_access:  read_only
        .address_space:  global
        .offset:         72
        .size:           8
        .value_kind:     global_buffer
      - .address_space:  global
        .offset:         80
        .size:           8
        .value_kind:     global_buffer
    .group_segment_fixed_size: 0
    .kernarg_segment_align: 8
    .kernarg_segment_size: 88
    .language:       OpenCL C
    .language_version:
      - 2
      - 0
    .max_flat_workgroup_size: 117
    .name:           fft_rtc_fwd_len702_factors_13_3_6_3_wgs_117_tpt_117_halfLds_dp_ip_CI_unitstride_sbrr_C2R_dirReg
    .private_segment_fixed_size: 0
    .sgpr_count:     50
    .sgpr_spill_count: 0
    .symbol:         fft_rtc_fwd_len702_factors_13_3_6_3_wgs_117_tpt_117_halfLds_dp_ip_CI_unitstride_sbrr_C2R_dirReg.kd
    .uniform_work_group_size: 1
    .uses_dynamic_stack: false
    .vgpr_count:     119
    .vgpr_spill_count: 0
    .wavefront_size: 64
amdhsa.target:   amdgcn-amd-amdhsa--gfx906
amdhsa.version:
  - 1
  - 2
...

	.end_amdgpu_metadata
